;; amdgpu-corpus repo=ROCm/rocFFT kind=compiled arch=gfx950 opt=O3
	.text
	.amdgcn_target "amdgcn-amd-amdhsa--gfx950"
	.amdhsa_code_object_version 6
	.protected	bluestein_single_back_len168_dim1_dp_op_CI_CI ; -- Begin function bluestein_single_back_len168_dim1_dp_op_CI_CI
	.globl	bluestein_single_back_len168_dim1_dp_op_CI_CI
	.p2align	8
	.type	bluestein_single_back_len168_dim1_dp_op_CI_CI,@function
bluestein_single_back_len168_dim1_dp_op_CI_CI: ; @bluestein_single_back_len168_dim1_dp_op_CI_CI
; %bb.0:
	s_load_dwordx4 s[8:11], s[0:1], 0x28
	v_mul_u32_u24_e32 v1, 0x493, v0
	v_lshrrev_b32_e32 v1, 16, v1
	v_lshl_add_u32 v64, s2, 2, v1
	v_mov_b32_e32 v65, 0
	s_waitcnt lgkmcnt(0)
	v_cmp_gt_u64_e32 vcc, s[8:9], v[64:65]
	s_and_saveexec_b64 s[2:3], vcc
	s_cbranch_execz .LBB0_23
; %bb.1:
	s_load_dwordx2 s[2:3], s[0:1], 0x0
	s_load_dwordx2 s[8:9], s[0:1], 0x38
	v_mul_lo_u16_e32 v2, 56, v1
	v_sub_u16_e32 v65, v0, v2
	v_and_b32_e32 v0, 3, v1
	v_mul_u32_u24_e32 v67, 0xa8, v0
	v_cmp_gt_u16_e32 vcc, 21, v65
	v_lshlrev_b32_e32 v66, 4, v65
	v_lshlrev_b32_e32 v68, 4, v67
	s_and_saveexec_b64 s[12:13], vcc
	s_cbranch_execz .LBB0_3
; %bb.2:
	s_load_dwordx2 s[4:5], s[0:1], 0x18
	v_mov_b32_e32 v0, s10
	v_mov_b32_e32 v1, s11
	;; [unrolled: 1-line block ×3, first 2 shown]
	v_lshl_add_u32 v69, v65, 4, v68
	s_waitcnt lgkmcnt(0)
	s_load_dwordx4 s[4:7], s[4:5], 0x0
	v_add_u32_e32 v74, v68, v66
	s_waitcnt lgkmcnt(0)
	v_mad_u64_u32 v[2:3], s[10:11], s6, v64, 0
	v_mad_u64_u32 v[4:5], s[10:11], s4, v65, 0
	v_mov_b32_e32 v6, v3
	v_mov_b32_e32 v8, v5
	v_mad_u64_u32 v[6:7], s[6:7], s7, v64, v[6:7]
	v_mov_b32_e32 v3, v6
	v_mad_u64_u32 v[6:7], s[6:7], s5, v65, v[8:9]
	v_mov_b32_e32 v5, v6
	v_lshl_add_u64 v[0:1], v[2:3], 4, v[0:1]
	v_lshl_add_u64 v[4:5], v[4:5], 4, v[0:1]
	v_mad_u64_u32 v[16:17], s[6:7], s4, v58, v[4:5]
	s_mulk_i32 s5, 0x150
	global_load_dwordx4 v[0:3], v[4:5], off
	v_add_u32_e32 v17, s5, v17
	global_load_dwordx4 v[4:7], v66, s[2:3]
	global_load_dwordx4 v[8:11], v66, s[2:3] offset:336
	global_load_dwordx4 v[12:15], v[16:17], off
	v_mad_u64_u32 v[28:29], s[6:7], s4, v58, v[16:17]
	v_add_u32_e32 v29, s5, v29
	v_mad_u64_u32 v[32:33], s[6:7], s4, v58, v[28:29]
	global_load_dwordx4 v[16:19], v[28:29], off
	global_load_dwordx4 v[20:23], v66, s[2:3] offset:672
	global_load_dwordx4 v[24:27], v66, s[2:3] offset:1008
	v_add_u32_e32 v33, s5, v33
	global_load_dwordx4 v[28:31], v[32:33], off
	v_mad_u64_u32 v[44:45], s[6:7], s4, v58, v[32:33]
	v_add_u32_e32 v45, s5, v45
	v_mad_u64_u32 v[48:49], s[6:7], s4, v58, v[44:45]
	global_load_dwordx4 v[32:35], v[44:45], off
	global_load_dwordx4 v[36:39], v66, s[2:3] offset:1344
	global_load_dwordx4 v[40:43], v66, s[2:3] offset:1680
	v_add_u32_e32 v49, s5, v49
	global_load_dwordx4 v[44:47], v[48:49], off
	v_mad_u64_u32 v[56:57], s[6:7], s4, v58, v[48:49]
	v_add_u32_e32 v57, s5, v57
	global_load_dwordx4 v[48:51], v[56:57], off
	global_load_dwordx4 v[52:55], v66, s[2:3] offset:2016
	v_mad_u64_u32 v[60:61], s[6:7], s4, v58, v[56:57]
	v_add_u32_e32 v61, s5, v61
	global_load_dwordx4 v[56:59], v66, s[2:3] offset:2352
	s_waitcnt vmcnt(13)
	v_mul_f64 v[70:71], v[2:3], v[6:7]
	global_load_dwordx4 v[60:63], v[60:61], off
	v_mul_f64 v[6:7], v[0:1], v[6:7]
	v_fmac_f64_e32 v[70:71], v[0:1], v[4:5]
	v_fma_f64 v[72:73], v[2:3], v[4:5], -v[6:7]
	s_waitcnt vmcnt(12)
	v_mul_f64 v[0:1], v[14:15], v[10:11]
	v_mul_f64 v[2:3], v[12:13], v[10:11]
	v_fmac_f64_e32 v[0:1], v[12:13], v[8:9]
	v_fma_f64 v[2:3], v[14:15], v[8:9], -v[2:3]
	ds_write_b128 v69, v[70:73]
	ds_write_b128 v74, v[0:3] offset:336
	s_waitcnt vmcnt(10)
	v_mul_f64 v[0:1], v[18:19], v[22:23]
	v_mul_f64 v[2:3], v[16:17], v[22:23]
	v_fmac_f64_e32 v[0:1], v[16:17], v[20:21]
	v_fma_f64 v[2:3], v[18:19], v[20:21], -v[2:3]
	ds_write_b128 v74, v[0:3] offset:672
	s_waitcnt vmcnt(8)
	v_mul_f64 v[0:1], v[30:31], v[26:27]
	v_mul_f64 v[2:3], v[28:29], v[26:27]
	v_fmac_f64_e32 v[0:1], v[28:29], v[24:25]
	v_fma_f64 v[2:3], v[30:31], v[24:25], -v[2:3]
	ds_write_b128 v74, v[0:3] offset:1008
	s_waitcnt vmcnt(6)
	v_mul_f64 v[0:1], v[34:35], v[38:39]
	v_mul_f64 v[2:3], v[32:33], v[38:39]
	v_fmac_f64_e32 v[0:1], v[32:33], v[36:37]
	v_fma_f64 v[2:3], v[34:35], v[36:37], -v[2:3]
	ds_write_b128 v74, v[0:3] offset:1344
	s_waitcnt vmcnt(4)
	v_mul_f64 v[0:1], v[46:47], v[42:43]
	v_mul_f64 v[2:3], v[44:45], v[42:43]
	v_fmac_f64_e32 v[0:1], v[44:45], v[40:41]
	v_fma_f64 v[2:3], v[46:47], v[40:41], -v[2:3]
	ds_write_b128 v74, v[0:3] offset:1680
	s_waitcnt vmcnt(2)
	v_mul_f64 v[0:1], v[50:51], v[54:55]
	v_mul_f64 v[2:3], v[48:49], v[54:55]
	v_fmac_f64_e32 v[0:1], v[48:49], v[52:53]
	v_fma_f64 v[2:3], v[50:51], v[52:53], -v[2:3]
	ds_write_b128 v74, v[0:3] offset:2016
	s_waitcnt vmcnt(0)
	v_mul_f64 v[0:1], v[62:63], v[58:59]
	v_mul_f64 v[2:3], v[60:61], v[58:59]
	v_fmac_f64_e32 v[0:1], v[60:61], v[56:57]
	v_fma_f64 v[2:3], v[62:63], v[56:57], -v[2:3]
	ds_write_b128 v74, v[0:3] offset:2352
.LBB0_3:
	s_or_b64 exec, exec, s[12:13]
	s_waitcnt lgkmcnt(0)
	s_barrier
	s_waitcnt lgkmcnt(0)
                                        ; implicit-def: $vgpr0_vgpr1
                                        ; implicit-def: $vgpr8_vgpr9
                                        ; implicit-def: $vgpr16_vgpr17
                                        ; implicit-def: $vgpr28_vgpr29
                                        ; implicit-def: $vgpr24_vgpr25
                                        ; implicit-def: $vgpr20_vgpr21
                                        ; implicit-def: $vgpr12_vgpr13
                                        ; implicit-def: $vgpr4_vgpr5
	s_and_saveexec_b64 s[4:5], vcc
	s_cbranch_execz .LBB0_5
; %bb.4:
	v_lshl_add_u32 v28, v67, 4, v66
	ds_read_b128 v[0:3], v28
	ds_read_b128 v[4:7], v28 offset:336
	ds_read_b128 v[8:11], v28 offset:672
	ds_read_b128 v[12:15], v28 offset:1008
	ds_read_b128 v[20:23], v28 offset:1344
	ds_read_b128 v[16:19], v28 offset:1680
	ds_read_b128 v[24:27], v28 offset:2016
	ds_read_b128 v[28:31], v28 offset:2352
.LBB0_5:
	s_or_b64 exec, exec, s[4:5]
	s_waitcnt lgkmcnt(3)
	v_add_f64 v[20:21], v[0:1], -v[20:21]
	v_add_f64 v[22:23], v[2:3], -v[22:23]
	s_waitcnt lgkmcnt(1)
	v_add_f64 v[24:25], v[8:9], -v[24:25]
	v_add_f64 v[26:27], v[10:11], -v[26:27]
	;; [unrolled: 1-line block ×4, first 2 shown]
	s_waitcnt lgkmcnt(0)
	v_add_f64 v[28:29], v[12:13], -v[28:29]
	v_add_f64 v[30:31], v[14:15], -v[30:31]
	s_load_dwordx2 s[10:11], s[0:1], 0x8
	v_fma_f64 v[0:1], v[0:1], 2.0, -v[20:21]
	v_fma_f64 v[2:3], v[2:3], 2.0, -v[22:23]
	;; [unrolled: 1-line block ×8, first 2 shown]
	v_add_f64 v[48:49], v[20:21], -v[26:27]
	v_add_f64 v[50:51], v[24:25], v[22:23]
	v_add_f64 v[56:57], v[16:17], -v[30:31]
	v_add_f64 v[58:59], v[28:29], v[18:19]
	s_mov_b32 s4, 0x667f3bcd
	v_add_f64 v[8:9], v[0:1], -v[8:9]
	v_add_f64 v[10:11], v[2:3], -v[10:11]
	v_fma_f64 v[20:21], v[20:21], 2.0, -v[48:49]
	v_fma_f64 v[22:23], v[22:23], 2.0, -v[50:51]
	v_add_f64 v[12:13], v[4:5], -v[12:13]
	v_add_f64 v[14:15], v[6:7], -v[14:15]
	v_fma_f64 v[16:17], v[16:17], 2.0, -v[56:57]
	v_fma_f64 v[18:19], v[18:19], 2.0, -v[58:59]
	s_mov_b32 s5, 0xbfe6a09e
	s_mov_b32 s7, 0x3fe6a09e
	;; [unrolled: 1-line block ×3, first 2 shown]
	v_fma_f64 v[0:1], v[0:1], 2.0, -v[8:9]
	v_fma_f64 v[2:3], v[2:3], 2.0, -v[10:11]
	;; [unrolled: 1-line block ×4, first 2 shown]
	v_fma_f64 v[44:45], s[4:5], v[16:17], v[20:21]
	v_fma_f64 v[46:47], s[4:5], v[18:19], v[22:23]
	;; [unrolled: 1-line block ×4, first 2 shown]
	v_add_f64 v[36:37], v[0:1], -v[4:5]
	v_add_f64 v[38:39], v[2:3], -v[6:7]
	v_fmac_f64_e32 v[44:45], s[4:5], v[18:19]
	v_fmac_f64_e32 v[46:47], s[6:7], v[16:17]
	v_add_f64 v[52:53], v[8:9], -v[14:15]
	v_add_f64 v[54:55], v[10:11], v[12:13]
	v_fmac_f64_e32 v[24:25], s[4:5], v[58:59]
	v_fmac_f64_e32 v[26:27], s[6:7], v[56:57]
	v_fma_f64 v[28:29], v[0:1], 2.0, -v[36:37]
	v_fma_f64 v[30:31], v[2:3], 2.0, -v[38:39]
	;; [unrolled: 1-line block ×8, first 2 shown]
	v_lshlrev_b16_e32 v72, 3, v65
	s_waitcnt lgkmcnt(0)
	s_barrier
	s_and_saveexec_b64 s[4:5], vcc
	s_cbranch_execz .LBB0_7
; %bb.6:
	v_add_lshl_u32 v0, v67, v72, 4
	ds_write_b128 v0, v[28:31]
	ds_write_b128 v0, v[32:35] offset:16
	ds_write_b128 v0, v[40:43] offset:32
	;; [unrolled: 1-line block ×7, first 2 shown]
.LBB0_7:
	s_or_b64 exec, exec, s[4:5]
	s_load_dwordx2 s[4:5], s[0:1], 0x20
	v_cmp_gt_u16_e64 s[0:1], 24, v65
	v_add_lshl_u32 v69, v67, v65, 4
	s_waitcnt lgkmcnt(0)
	s_barrier
	s_and_saveexec_b64 s[6:7], s[0:1]
	s_cbranch_execz .LBB0_9
; %bb.8:
	ds_read_b128 v[28:31], v69
	ds_read_b128 v[32:35], v69 offset:384
	ds_read_b128 v[40:43], v69 offset:768
	;; [unrolled: 1-line block ×6, first 2 shown]
.LBB0_9:
	s_or_b64 exec, exec, s[6:7]
	v_and_b32_e32 v70, 7, v65
	v_mul_u32_u24_e32 v0, 6, v70
	v_lshlrev_b32_e32 v56, 4, v0
	global_load_dwordx4 v[12:15], v56, s[10:11]
	global_load_dwordx4 v[8:11], v56, s[10:11] offset:16
	global_load_dwordx4 v[4:7], v56, s[10:11] offset:32
	;; [unrolled: 1-line block ×5, first 2 shown]
	s_mov_b32 s6, 0x36b3c0b5
	s_mov_b32 s12, 0x37e14327
	;; [unrolled: 1-line block ×10, first 2 shown]
	v_lshrrev_b32_e32 v73, 3, v65
	s_waitcnt lgkmcnt(0)
	s_barrier
	s_waitcnt vmcnt(5)
	v_mul_f64 v[56:57], v[34:35], v[14:15]
	v_mul_f64 v[58:59], v[32:33], v[14:15]
	s_waitcnt vmcnt(4)
	v_mul_f64 v[60:61], v[42:43], v[10:11]
	v_mul_f64 v[62:63], v[40:41], v[10:11]
	;; [unrolled: 3-line block ×6, first 2 shown]
	v_fma_f64 v[32:33], v[32:33], v[12:13], -v[56:57]
	v_fmac_f64_e32 v[58:59], v[34:35], v[12:13]
	v_fma_f64 v[34:35], v[40:41], v[8:9], -v[60:61]
	v_fmac_f64_e32 v[62:63], v[42:43], v[8:9]
	;; [unrolled: 2-line block ×6, first 2 shown]
	v_add_f64 v[44:45], v[32:33], v[42:43]
	v_add_f64 v[46:47], v[34:35], v[38:39]
	;; [unrolled: 1-line block ×6, first 2 shown]
	v_add_f64 v[32:33], v[32:33], -v[42:43]
	v_add_f64 v[42:43], v[58:59], -v[88:89]
	;; [unrolled: 1-line block ×6, first 2 shown]
	v_add_f64 v[56:57], v[46:47], v[44:45]
	v_add_f64 v[58:59], v[52:53], v[50:51]
	v_add_f64 v[60:61], v[46:47], -v[44:45]
	v_add_f64 v[46:47], v[48:49], -v[46:47]
	;; [unrolled: 1-line block ×6, first 2 shown]
	v_add_f64 v[74:75], v[36:37], v[34:35]
	v_add_f64 v[78:79], v[40:41], v[38:39]
	v_add_f64 v[80:81], v[40:41], -v[38:39]
	v_add_f64 v[48:49], v[48:49], v[56:57]
	v_add_f64 v[58:59], v[54:55], v[58:59]
	v_mul_f64 v[54:55], v[46:47], s[6:7]
	v_mul_f64 v[56:57], v[52:53], s[6:7]
	v_add_f64 v[76:77], v[36:37], -v[34:35]
	v_add_f64 v[36:37], v[32:33], -v[36:37]
	;; [unrolled: 1-line block ×5, first 2 shown]
	v_add_f64 v[74:75], v[74:75], v[32:33]
	v_add_f64 v[42:43], v[78:79], v[42:43]
	v_mul_f64 v[44:45], v[44:45], s[12:13]
	v_mul_f64 v[50:51], v[50:51], s[12:13]
	;; [unrolled: 1-line block ×3, first 2 shown]
	v_fma_f64 v[78:79], v[60:61], s[14:15], -v[54:55]
	v_fma_f64 v[80:81], v[62:63], s[14:15], -v[56:57]
	s_mov_b32 s15, 0xbfe77f67
	v_mul_f64 v[76:77], v[76:77], s[16:17]
	v_fma_f64 v[46:47], s[6:7], v[46:47], v[44:45]
	v_fma_f64 v[62:63], v[62:63], s[14:15], -v[50:51]
	v_fmac_f64_e32 v[50:51], s[6:7], v[52:53]
	s_mov_b32 s7, 0x3fd5d0dc
	s_mov_b32 s6, 0xb247c609
	v_mul_f64 v[52:53], v[34:35], s[18:19]
	v_fma_f64 v[82:83], v[34:35], s[18:19], -v[76:77]
	v_fma_f64 v[34:35], s[6:7], v[36:37], v[76:77]
	v_fma_f64 v[76:77], v[38:39], s[18:19], -v[32:33]
	v_fmac_f64_e32 v[32:33], s[6:7], v[40:41]
	s_mov_b32 s7, 0xbfd5d0dc
	v_fma_f64 v[56:57], v[36:37], s[6:7], -v[52:53]
	v_mul_f64 v[36:37], v[38:39], s[18:19]
	v_fma_f64 v[54:55], v[40:41], s[6:7], -v[36:37]
	s_mov_b32 s6, 0xaaaaaaaa
	v_add_f64 v[28:29], v[28:29], v[48:49]
	s_mov_b32 s7, 0xbff2aaaa
	v_add_f64 v[30:31], v[30:31], v[58:59]
	v_fma_f64 v[44:45], v[60:61], s[14:15], -v[44:45]
	v_fma_f64 v[36:37], s[6:7], v[48:49], v[28:29]
	v_add_f64 v[52:53], v[46:47], v[36:37]
	v_add_f64 v[40:41], v[78:79], v[36:37]
	;; [unrolled: 1-line block ×3, first 2 shown]
	v_fma_f64 v[36:37], s[6:7], v[58:59], v[30:31]
	s_mov_b32 s6, 0x37c3f68c
	s_mov_b32 s7, 0x3fdc38aa
	v_add_f64 v[58:59], v[50:51], v[36:37]
	v_add_f64 v[44:45], v[80:81], v[36:37]
	;; [unrolled: 1-line block ×3, first 2 shown]
	v_fmac_f64_e32 v[34:35], s[6:7], v[74:75]
	v_fmac_f64_e32 v[32:33], s[6:7], v[42:43]
	;; [unrolled: 1-line block ×6, first 2 shown]
	v_add_f64 v[36:37], v[40:41], -v[76:77]
	v_add_f64 v[38:39], v[82:83], v[44:45]
	v_add_f64 v[40:41], v[76:77], v[40:41]
	v_add_f64 v[42:43], v[44:45], -v[82:83]
	v_add_f64 v[44:45], v[60:61], -v[54:55]
	v_add_f64 v[46:47], v[56:57], v[62:63]
	v_add_f64 v[48:49], v[52:53], -v[32:33]
	v_add_f64 v[50:51], v[34:35], v[58:59]
	s_and_saveexec_b64 s[6:7], s[0:1]
	s_cbranch_execz .LBB0_11
; %bb.10:
	v_add_f64 v[32:33], v[32:33], v[52:53]
	v_mul_u32_u24_e32 v52, 56, v73
	v_or_b32_e32 v52, v52, v70
	v_add_lshl_u32 v52, v67, v52, 4
	v_add_f64 v[56:57], v[62:63], -v[56:57]
	v_add_f64 v[54:55], v[54:55], v[60:61]
	v_add_f64 v[34:35], v[58:59], -v[34:35]
	ds_write_b128 v52, v[28:31]
	ds_write_b128 v52, v[32:35] offset:128
	ds_write_b128 v52, v[54:57] offset:256
	;; [unrolled: 1-line block ×6, first 2 shown]
.LBB0_11:
	s_or_b64 exec, exec, s[6:7]
	v_lshlrev_b32_e32 v52, 5, v65
	s_load_dwordx4 s[4:7], s[4:5], 0x0
	s_waitcnt lgkmcnt(0)
	s_barrier
	global_load_dwordx4 v[32:35], v52, s[10:11] offset:768
	global_load_dwordx4 v[28:31], v52, s[10:11] offset:784
	ds_read_b128 v[52:55], v69
	ds_read_b128 v[56:59], v69 offset:896
	ds_read_b128 v[60:63], v69 offset:1792
	s_mov_b32 s10, 0xe8584caa
	s_mov_b32 s11, 0x3febb67a
	;; [unrolled: 1-line block ×4, first 2 shown]
	v_lshl_add_u32 v71, v65, 4, v68
	s_waitcnt vmcnt(1) lgkmcnt(1)
	v_mul_f64 v[74:75], v[58:59], v[34:35]
	v_mul_f64 v[76:77], v[56:57], v[34:35]
	s_waitcnt vmcnt(0) lgkmcnt(0)
	v_mul_f64 v[78:79], v[62:63], v[30:31]
	v_mul_f64 v[80:81], v[60:61], v[30:31]
	v_fma_f64 v[56:57], v[56:57], v[32:33], -v[74:75]
	v_fmac_f64_e32 v[76:77], v[58:59], v[32:33]
	v_fma_f64 v[58:59], v[60:61], v[28:29], -v[78:79]
	v_fmac_f64_e32 v[80:81], v[62:63], v[28:29]
	v_add_f64 v[62:63], v[56:57], v[58:59]
	v_add_f64 v[74:75], v[76:77], -v[80:81]
	v_add_f64 v[78:79], v[54:55], v[76:77]
	v_add_f64 v[76:77], v[76:77], v[80:81]
	;; [unrolled: 1-line block ×3, first 2 shown]
	v_add_f64 v[82:83], v[56:57], -v[58:59]
	v_fmac_f64_e32 v[52:53], -0.5, v[62:63]
	v_fmac_f64_e32 v[54:55], -0.5, v[76:77]
	v_add_f64 v[56:57], v[60:61], v[58:59]
	v_add_f64 v[58:59], v[78:79], v[80:81]
	v_fma_f64 v[60:61], s[10:11], v[74:75], v[52:53]
	v_fmac_f64_e32 v[52:53], s[12:13], v[74:75]
	v_fma_f64 v[62:63], s[12:13], v[82:83], v[54:55]
	v_fmac_f64_e32 v[54:55], s[10:11], v[82:83]
	ds_write_b128 v71, v[56:59]
	ds_write_b128 v71, v[60:63] offset:896
	ds_write_b128 v71, v[52:55] offset:1792
	s_waitcnt lgkmcnt(0)
	s_barrier
	s_and_saveexec_b64 s[10:11], vcc
	s_cbranch_execz .LBB0_13
; %bb.12:
	global_load_dwordx4 v[78:81], v66, s[2:3] offset:2688
	ds_read_b128 v[74:77], v71
	s_add_u32 s12, s2, 0xa80
	s_addc_u32 s13, s3, 0
	s_waitcnt vmcnt(0) lgkmcnt(0)
	v_mul_f64 v[82:83], v[76:77], v[80:81]
	v_mul_f64 v[84:85], v[74:75], v[80:81]
	v_fma_f64 v[82:83], v[74:75], v[78:79], -v[82:83]
	v_fmac_f64_e32 v[84:85], v[76:77], v[78:79]
	global_load_dwordx4 v[78:81], v66, s[12:13] offset:336
	ds_read_b128 v[74:77], v71 offset:336
	ds_write_b128 v71, v[82:85]
	s_waitcnt vmcnt(0) lgkmcnt(1)
	v_mul_f64 v[82:83], v[76:77], v[80:81]
	v_mul_f64 v[84:85], v[74:75], v[80:81]
	v_fma_f64 v[82:83], v[74:75], v[78:79], -v[82:83]
	v_fmac_f64_e32 v[84:85], v[76:77], v[78:79]
	global_load_dwordx4 v[78:81], v66, s[12:13] offset:672
	ds_read_b128 v[74:77], v71 offset:672
	ds_write_b128 v71, v[82:85] offset:336
	s_waitcnt vmcnt(0) lgkmcnt(1)
	v_mul_f64 v[82:83], v[76:77], v[80:81]
	v_mul_f64 v[84:85], v[74:75], v[80:81]
	v_fma_f64 v[82:83], v[74:75], v[78:79], -v[82:83]
	v_fmac_f64_e32 v[84:85], v[76:77], v[78:79]
	global_load_dwordx4 v[78:81], v66, s[12:13] offset:1008
	ds_read_b128 v[74:77], v71 offset:1008
	ds_write_b128 v71, v[82:85] offset:672
	;; [unrolled: 8-line block ×6, first 2 shown]
	s_waitcnt vmcnt(0) lgkmcnt(1)
	v_mul_f64 v[82:83], v[76:77], v[80:81]
	v_mul_f64 v[84:85], v[74:75], v[80:81]
	v_fma_f64 v[82:83], v[74:75], v[78:79], -v[82:83]
	v_fmac_f64_e32 v[84:85], v[76:77], v[78:79]
	ds_write_b128 v71, v[82:85] offset:2352
.LBB0_13:
	s_or_b64 exec, exec, s[10:11]
	s_waitcnt lgkmcnt(0)
	s_barrier
	s_and_saveexec_b64 s[10:11], vcc
	s_cbranch_execz .LBB0_15
; %bb.14:
	ds_read_b128 v[56:59], v71
	ds_read_b128 v[60:63], v71 offset:336
	ds_read_b128 v[52:55], v71 offset:672
	;; [unrolled: 1-line block ×7, first 2 shown]
.LBB0_15:
	s_or_b64 exec, exec, s[10:11]
	s_waitcnt lgkmcnt(3)
	v_add_f64 v[42:43], v[58:59], -v[42:43]
	s_waitcnt lgkmcnt(1)
	v_add_f64 v[50:51], v[54:55], -v[50:51]
	v_add_f64 v[46:47], v[62:63], -v[46:47]
	s_waitcnt lgkmcnt(0)
	v_add_f64 v[26:27], v[38:39], -v[26:27]
	v_add_f64 v[40:41], v[56:57], -v[40:41]
	v_fma_f64 v[58:59], v[58:59], 2.0, -v[42:43]
	v_add_f64 v[48:49], v[52:53], -v[48:49]
	v_fma_f64 v[54:55], v[54:55], 2.0, -v[50:51]
	;; [unrolled: 2-line block ×4, first 2 shown]
	v_fma_f64 v[56:57], v[56:57], 2.0, -v[40:41]
	v_fma_f64 v[52:53], v[52:53], 2.0, -v[48:49]
	;; [unrolled: 1-line block ×4, first 2 shown]
	v_add_f64 v[76:77], v[58:59], -v[54:55]
	v_add_f64 v[80:81], v[62:63], -v[38:39]
	;; [unrolled: 1-line block ×3, first 2 shown]
	v_fma_f64 v[54:55], v[58:59], 2.0, -v[76:77]
	v_add_f64 v[78:79], v[42:43], -v[48:49]
	v_add_f64 v[58:59], v[60:61], -v[36:37]
	v_fma_f64 v[38:39], v[62:63], 2.0, -v[80:81]
	v_add_f64 v[84:85], v[46:47], -v[24:25]
	s_mov_b32 s10, 0x667f3bcd
	v_fma_f64 v[52:53], v[56:57], 2.0, -v[74:75]
	v_add_f64 v[50:51], v[50:51], v[40:41]
	v_fma_f64 v[56:57], v[42:43], 2.0, -v[78:79]
	v_fma_f64 v[36:37], v[60:61], 2.0, -v[58:59]
	v_add_f64 v[82:83], v[26:27], v[44:45]
	v_fma_f64 v[46:47], v[46:47], 2.0, -v[84:85]
	v_add_f64 v[42:43], v[54:55], -v[38:39]
	s_mov_b32 s11, 0xbfe6a09e
	v_fma_f64 v[48:49], v[40:41], 2.0, -v[50:51]
	v_fma_f64 v[44:45], v[44:45], 2.0, -v[82:83]
	v_add_f64 v[40:41], v[52:53], -v[36:37]
	v_fma_f64 v[26:27], v[54:55], 2.0, -v[42:43]
	v_fma_f64 v[54:55], s[10:11], v[46:47], v[56:57]
	s_mov_b32 s13, 0x3fe6a09e
	s_mov_b32 s12, s10
	v_fma_f64 v[24:25], v[52:53], 2.0, -v[40:41]
	v_fma_f64 v[52:53], s[10:11], v[44:45], v[48:49]
	v_fmac_f64_e32 v[54:55], s[10:11], v[44:45]
	v_fma_f64 v[60:61], s[12:13], v[82:83], v[50:51]
	v_fma_f64 v[62:63], s[12:13], v[84:85], v[78:79]
	v_fmac_f64_e32 v[52:53], s[12:13], v[46:47]
	v_fma_f64 v[38:39], v[56:57], 2.0, -v[54:55]
	v_add_f64 v[56:57], v[74:75], v[80:81]
	v_add_f64 v[58:59], v[76:77], -v[58:59]
	v_fmac_f64_e32 v[60:61], s[12:13], v[84:85]
	v_fmac_f64_e32 v[62:63], s[10:11], v[82:83]
	v_fma_f64 v[36:37], v[48:49], 2.0, -v[52:53]
	v_fma_f64 v[44:45], v[74:75], 2.0, -v[56:57]
	;; [unrolled: 1-line block ×5, first 2 shown]
	s_barrier
	s_and_saveexec_b64 s[10:11], vcc
	s_cbranch_execz .LBB0_17
; %bb.16:
	v_lshl_add_u32 v72, v72, 4, v68
	ds_write_b128 v72, v[24:27]
	ds_write_b128 v72, v[36:39] offset:16
	ds_write_b128 v72, v[44:47] offset:32
	;; [unrolled: 1-line block ×7, first 2 shown]
.LBB0_17:
	s_or_b64 exec, exec, s[10:11]
	s_waitcnt lgkmcnt(0)
	s_barrier
	s_and_saveexec_b64 s[10:11], s[0:1]
	s_cbranch_execz .LBB0_19
; %bb.18:
	ds_read_b128 v[24:27], v69
	ds_read_b128 v[36:39], v69 offset:384
	ds_read_b128 v[44:47], v69 offset:768
	;; [unrolled: 1-line block ×6, first 2 shown]
.LBB0_19:
	s_or_b64 exec, exec, s[10:11]
	s_waitcnt lgkmcnt(0)
	s_barrier
	s_and_saveexec_b64 s[10:11], s[0:1]
	s_cbranch_execz .LBB0_21
; %bb.20:
	v_mul_f64 v[60:61], v[14:15], v[38:39]
	v_mul_f64 v[62:63], v[22:23], v[58:59]
	;; [unrolled: 1-line block ×8, first 2 shown]
	v_fmac_f64_e32 v[60:61], v[12:13], v[36:37]
	v_fmac_f64_e32 v[62:63], v[20:21], v[56:57]
	v_mul_f64 v[76:77], v[2:3], v[42:43]
	v_mul_f64 v[78:79], v[6:7], v[50:51]
	v_fmac_f64_e32 v[84:85], v[8:9], v[44:45]
	v_fmac_f64_e32 v[86:87], v[16:17], v[52:53]
	v_fma_f64 v[20:21], v[20:21], v[58:59], -v[22:23]
	v_fma_f64 v[12:13], v[12:13], v[38:39], -v[14:15]
	;; [unrolled: 1-line block ×4, first 2 shown]
	v_mul_f64 v[6:7], v[6:7], v[48:49]
	v_mul_f64 v[2:3], v[2:3], v[40:41]
	v_fmac_f64_e32 v[78:79], v[4:5], v[48:49]
	v_add_f64 v[14:15], v[20:21], v[12:13]
	v_add_f64 v[10:11], v[8:9], v[16:17]
	v_fma_f64 v[4:5], v[4:5], v[50:51], -v[6:7]
	v_fma_f64 v[22:23], v[0:1], v[42:43], -v[2:3]
	v_fmac_f64_e32 v[76:77], v[0:1], v[40:41]
	v_add_f64 v[18:19], v[10:11], v[14:15]
	v_add_f64 v[0:1], v[22:23], v[4:5]
	v_add_f64 v[6:7], v[0:1], v[18:19]
	v_add_f64 v[2:3], v[26:27], v[6:7]
	s_mov_b32 s16, 0xaaaaaaaa
	s_mov_b32 s17, 0xbff2aaaa
	v_mov_b64_e32 v[18:19], v[2:3]
	s_mov_b32 s18, 0x37e14327
	v_fmac_f64_e32 v[18:19], s[16:17], v[6:7]
	v_add_f64 v[6:7], v[14:15], -v[0:1]
	s_mov_b32 s19, 0x3fe948f6
	s_mov_b32 s20, 0x36b3c0b5
	v_mul_f64 v[26:27], v[6:7], s[18:19]
	v_add_f64 v[0:1], v[0:1], -v[10:11]
	s_mov_b32 s21, 0x3fac98ee
	v_mul_f64 v[36:37], v[0:1], s[20:21]
	v_fma_f64 v[0:1], s[20:21], v[0:1], v[26:27]
	v_add_f64 v[40:41], v[62:63], v[60:61]
	v_add_f64 v[42:43], v[84:85], v[86:87]
	;; [unrolled: 1-line block ×7, first 2 shown]
	v_add_f64 v[80:81], v[76:77], -v[78:79]
	v_add_f64 v[88:89], v[84:85], -v[86:87]
	s_mov_b32 s14, 0xe976ee23
	v_mov_b64_e32 v[24:25], v[0:1]
	v_add_f64 v[4:5], v[22:23], -v[4:5]
	v_add_f64 v[8:9], v[8:9], -v[16:17]
	;; [unrolled: 1-line block ×3, first 2 shown]
	s_mov_b32 s15, 0x3fe11646
	v_fmac_f64_e32 v[24:25], s[16:17], v[46:47]
	v_add_f64 v[46:47], v[40:41], -v[44:45]
	v_add_f64 v[16:17], v[4:5], -v[8:9]
	;; [unrolled: 1-line block ×3, first 2 shown]
	v_mul_f64 v[90:91], v[90:91], s[14:15]
	v_mul_f64 v[46:47], v[46:47], s[18:19]
	;; [unrolled: 1-line block ×3, first 2 shown]
	s_mov_b32 s14, 0x429ad128
	v_add_f64 v[14:15], v[10:11], -v[14:15]
	s_mov_b32 s17, 0xbfe77f67
	s_mov_b32 s16, 0x5476071b
	v_add_f64 v[40:41], v[42:43], -v[40:41]
	v_add_f64 v[82:83], v[74:75], -v[80:81]
	v_add_f64 v[80:81], v[88:89], v[80:81]
	s_mov_b32 s0, 0x37c3f68c
	v_add_f64 v[44:45], v[44:45], -v[42:43]
	v_add_f64 v[12:13], v[12:13], -v[20:21]
	;; [unrolled: 1-line block ×3, first 2 shown]
	s_mov_b32 s15, 0xbfebfeb5
	v_fma_f64 v[10:11], v[14:15], s[16:17], -v[26:27]
	v_fma_f64 v[42:43], v[40:41], s[16:17], -v[46:47]
	s_mov_b32 s17, 0x3fe77f67
	v_add_f64 v[80:81], v[80:81], v[74:75]
	s_mov_b32 s1, 0xbfdc38aa
	v_add_f64 v[20:21], v[12:13], -v[4:5]
	v_add_f64 v[4:5], v[8:9], v[4:5]
	v_fma_f64 v[14:15], v[14:15], s[16:17], -v[36:37]
	v_fma_f64 v[36:37], v[52:53], s[14:15], -v[90:91]
	s_mov_b32 s13, 0xbfd5d0dc
	s_mov_b32 s12, 0xb247c609
	v_add_f64 v[22:23], v[4:5], v[12:13]
	v_add_f64 v[26:27], v[10:11], v[18:19]
	v_add_f64 v[12:13], v[8:9], -v[12:13]
	v_add_f64 v[18:19], v[14:15], v[18:19]
	v_fmac_f64_e32 v[36:37], s[0:1], v[80:81]
	v_fma_f64 v[92:93], s[12:13], v[82:83], v[90:91]
	v_mul_f64 v[48:49], v[44:45], s[20:21]
	v_fma_f64 v[50:51], s[12:13], v[20:21], v[16:17]
	v_mul_f64 v[54:55], v[52:53], s[14:15]
	s_mov_b32 s13, 0x3fd5d0dc
	v_mul_f64 v[8:9], v[12:13], s[14:15]
	v_add_f64 v[14:15], v[18:19], -v[36:37]
	v_add_f64 v[18:19], v[36:37], v[18:19]
	v_mul_u32_u24_e32 v36, 56, v73
	v_fma_f64 v[44:45], s[20:21], v[44:45], v[46:47]
	v_fma_f64 v[54:55], v[82:83], s[12:13], -v[54:55]
	v_fma_f64 v[20:21], v[20:21], s[12:13], -v[8:9]
	;; [unrolled: 1-line block ×4, first 2 shown]
	v_or_b32_e32 v36, v36, v70
	v_fmac_f64_e32 v[92:93], s[0:1], v[80:81]
	v_add_f64 v[44:45], v[44:45], v[24:25]
	v_fmac_f64_e32 v[50:51], s[0:1], v[22:23]
	v_fmac_f64_e32 v[54:55], s[0:1], v[80:81]
	v_add_f64 v[42:43], v[42:43], v[24:25]
	v_fmac_f64_e32 v[20:21], s[0:1], v[22:23]
	v_add_f64 v[24:25], v[40:41], v[24:25]
	v_fmac_f64_e32 v[16:17], s[0:1], v[22:23]
	v_lshl_add_u32 v36, v36, 4, v68
	v_add_f64 v[6:7], v[92:93], v[38:39]
	v_add_f64 v[4:5], v[44:45], -v[50:51]
	v_add_f64 v[10:11], v[54:55], v[26:27]
	v_add_f64 v[8:9], v[42:43], -v[20:21]
	;; [unrolled: 2-line block ×3, first 2 shown]
	v_add_f64 v[22:23], v[26:27], -v[54:55]
	v_add_f64 v[20:21], v[20:21], v[42:43]
	v_add_f64 v[26:27], v[38:39], -v[92:93]
	v_add_f64 v[24:25], v[50:51], v[44:45]
	ds_write_b128 v36, v[0:3]
	ds_write_b128 v36, v[24:27] offset:128
	ds_write_b128 v36, v[20:23] offset:256
	;; [unrolled: 1-line block ×6, first 2 shown]
.LBB0_21:
	s_or_b64 exec, exec, s[10:11]
	s_waitcnt lgkmcnt(0)
	s_barrier
	ds_read_b128 v[0:3], v69 offset:896
	ds_read_b128 v[4:7], v69
	ds_read_b128 v[8:11], v69 offset:1792
	s_mov_b32 s0, 0xe8584caa
	s_mov_b32 s1, 0xbfebb67a
	s_waitcnt lgkmcnt(2)
	v_mul_f64 v[12:13], v[34:35], v[2:3]
	v_fmac_f64_e32 v[12:13], v[32:33], v[0:1]
	v_mul_f64 v[0:1], v[34:35], v[0:1]
	s_waitcnt lgkmcnt(0)
	v_mul_f64 v[16:17], v[30:31], v[10:11]
	v_fma_f64 v[14:15], v[32:33], v[2:3], -v[0:1]
	v_fmac_f64_e32 v[16:17], v[28:29], v[8:9]
	v_mul_f64 v[0:1], v[30:31], v[8:9]
	v_fma_f64 v[10:11], v[28:29], v[10:11], -v[0:1]
	v_add_f64 v[2:3], v[12:13], v[16:17]
	v_add_f64 v[0:1], v[4:5], v[12:13]
	v_fmac_f64_e32 v[4:5], -0.5, v[2:3]
	v_add_f64 v[2:3], v[14:15], -v[10:11]
	s_mov_b32 s11, 0x3febb67a
	s_mov_b32 s10, s0
	v_fma_f64 v[8:9], s[0:1], v[2:3], v[4:5]
	v_fmac_f64_e32 v[4:5], s[10:11], v[2:3]
	v_add_f64 v[2:3], v[6:7], v[14:15]
	v_add_f64 v[2:3], v[2:3], v[10:11]
	;; [unrolled: 1-line block ×4, first 2 shown]
	v_fmac_f64_e32 v[6:7], -0.5, v[10:11]
	v_add_f64 v[12:13], v[12:13], -v[16:17]
	v_fma_f64 v[10:11], s[10:11], v[12:13], v[6:7]
	v_fmac_f64_e32 v[6:7], s[0:1], v[12:13]
	ds_write_b128 v71, v[0:3]
	ds_write_b128 v71, v[8:11] offset:896
	ds_write_b128 v71, v[4:7] offset:1792
	s_waitcnt lgkmcnt(0)
	s_barrier
	s_and_b64 exec, exec, vcc
	s_cbranch_execz .LBB0_23
; %bb.22:
	global_load_dwordx4 v[0:3], v66, s[2:3]
	global_load_dwordx4 v[4:7], v66, s[2:3] offset:336
	global_load_dwordx4 v[8:11], v66, s[2:3] offset:672
	global_load_dwordx4 v[12:15], v66, s[2:3] offset:1008
	global_load_dwordx4 v[16:19], v66, s[2:3] offset:1344
	global_load_dwordx4 v[20:23], v66, s[2:3] offset:1680
	global_load_dwordx4 v[24:27], v66, s[2:3] offset:2016
	global_load_dwordx4 v[28:31], v66, s[2:3] offset:2352
	v_mad_u64_u32 v[58:59], s[0:1], s6, v64, 0
	v_mov_b32_e32 v56, s8
	v_mov_b32_e32 v57, s9
	v_mad_u64_u32 v[60:61], s[8:9], s4, v65, 0
	v_mov_b32_e32 v62, v59
	v_lshl_add_u32 v78, v67, 4, v66
	v_mov_b32_e32 v66, v61
	v_mad_u64_u32 v[62:63], s[2:3], s7, v64, v[62:63]
	v_mad_u64_u32 v[64:65], s[2:3], s5, v65, v[66:67]
	v_mov_b32_e32 v59, v62
	v_mov_b32_e32 v61, v64
	v_lshl_add_u64 v[56:57], v[58:59], 4, v[56:57]
	v_mov_b32_e32 v79, 0x150
	v_lshl_add_u64 v[56:57], v[60:61], 4, v[56:57]
	s_mul_i32 s6, s5, 0x150
	v_mad_u64_u32 v[58:59], s[2:3], s4, v79, v[56:57]
	ds_read_b128 v[32:35], v71
	ds_read_b128 v[36:39], v78 offset:336
	ds_read_b128 v[40:43], v78 offset:672
	;; [unrolled: 1-line block ×5, first 2 shown]
	v_add_u32_e32 v59, s6, v59
	v_mad_u64_u32 v[60:61], s[2:3], s4, v79, v[58:59]
	v_add_u32_e32 v61, s6, v61
	s_mov_b32 s0, 0x18618618
	v_mad_u64_u32 v[62:63], s[2:3], s4, v79, v[60:61]
	s_mov_b32 s1, 0x3f786186
	v_add_u32_e32 v63, s6, v63
	v_mad_u64_u32 v[64:65], s[2:3], s4, v79, v[62:63]
	v_add_u32_e32 v65, s6, v65
	s_waitcnt vmcnt(7) lgkmcnt(5)
	v_mul_f64 v[66:67], v[34:35], v[2:3]
	v_mul_f64 v[2:3], v[32:33], v[2:3]
	s_waitcnt vmcnt(6) lgkmcnt(4)
	v_mul_f64 v[68:69], v[38:39], v[6:7]
	v_mul_f64 v[6:7], v[36:37], v[6:7]
	;; [unrolled: 3-line block ×5, first 2 shown]
	v_fmac_f64_e32 v[66:67], v[32:33], v[0:1]
	v_fma_f64 v[2:3], v[0:1], v[34:35], -v[2:3]
	v_fmac_f64_e32 v[68:69], v[36:37], v[4:5]
	v_fma_f64 v[6:7], v[4:5], v[38:39], -v[6:7]
	;; [unrolled: 2-line block ×5, first 2 shown]
	v_mul_f64 v[0:1], v[66:67], s[0:1]
	v_mul_f64 v[2:3], v[2:3], s[0:1]
	;; [unrolled: 1-line block ×10, first 2 shown]
	global_store_dwordx4 v[56:57], v[0:3], off
	global_store_dwordx4 v[58:59], v[4:7], off
	;; [unrolled: 1-line block ×5, first 2 shown]
	s_waitcnt vmcnt(7) lgkmcnt(0)
	v_mul_f64 v[76:77], v[54:55], v[22:23]
	v_mul_f64 v[2:3], v[52:53], v[22:23]
	ds_read_b128 v[4:7], v78 offset:2016
	v_fmac_f64_e32 v[76:77], v[52:53], v[20:21]
	v_fma_f64 v[2:3], v[20:21], v[54:55], -v[2:3]
	v_mad_u64_u32 v[12:13], s[2:3], s4, v79, v[64:65]
	v_mul_f64 v[0:1], v[76:77], s[0:1]
	v_mul_f64 v[2:3], v[2:3], s[0:1]
	v_add_u32_e32 v13, s6, v13
	global_store_dwordx4 v[12:13], v[0:3], off
	ds_read_b128 v[0:3], v78 offset:2352
	s_waitcnt vmcnt(7) lgkmcnt(1)
	v_mul_f64 v[8:9], v[6:7], v[26:27]
	v_fmac_f64_e32 v[8:9], v[4:5], v[24:25]
	v_mul_f64 v[4:5], v[4:5], v[26:27]
	v_fma_f64 v[4:5], v[24:25], v[6:7], -v[4:5]
	v_mul_f64 v[10:11], v[4:5], s[0:1]
	s_waitcnt vmcnt(6) lgkmcnt(0)
	v_mul_f64 v[4:5], v[2:3], v[30:31]
	v_mad_u64_u32 v[12:13], s[2:3], s4, v79, v[12:13]
	v_fmac_f64_e32 v[4:5], v[0:1], v[28:29]
	v_mul_f64 v[0:1], v[0:1], v[30:31]
	v_add_u32_e32 v13, s6, v13
	v_fma_f64 v[0:1], v[28:29], v[2:3], -v[0:1]
	v_mul_f64 v[8:9], v[8:9], s[0:1]
	v_mul_f64 v[4:5], v[4:5], s[0:1]
	;; [unrolled: 1-line block ×3, first 2 shown]
	v_mad_u64_u32 v[0:1], s[0:1], s4, v79, v[12:13]
	v_add_u32_e32 v1, s6, v1
	global_store_dwordx4 v[12:13], v[8:11], off
	global_store_dwordx4 v[0:1], v[4:7], off
.LBB0_23:
	s_endpgm
	.section	.rodata,"a",@progbits
	.p2align	6, 0x0
	.amdhsa_kernel bluestein_single_back_len168_dim1_dp_op_CI_CI
		.amdhsa_group_segment_fixed_size 10752
		.amdhsa_private_segment_fixed_size 0
		.amdhsa_kernarg_size 104
		.amdhsa_user_sgpr_count 2
		.amdhsa_user_sgpr_dispatch_ptr 0
		.amdhsa_user_sgpr_queue_ptr 0
		.amdhsa_user_sgpr_kernarg_segment_ptr 1
		.amdhsa_user_sgpr_dispatch_id 0
		.amdhsa_user_sgpr_kernarg_preload_length 0
		.amdhsa_user_sgpr_kernarg_preload_offset 0
		.amdhsa_user_sgpr_private_segment_size 0
		.amdhsa_uses_dynamic_stack 0
		.amdhsa_enable_private_segment 0
		.amdhsa_system_sgpr_workgroup_id_x 1
		.amdhsa_system_sgpr_workgroup_id_y 0
		.amdhsa_system_sgpr_workgroup_id_z 0
		.amdhsa_system_sgpr_workgroup_info 0
		.amdhsa_system_vgpr_workitem_id 0
		.amdhsa_next_free_vgpr 94
		.amdhsa_next_free_sgpr 22
		.amdhsa_accum_offset 96
		.amdhsa_reserve_vcc 1
		.amdhsa_float_round_mode_32 0
		.amdhsa_float_round_mode_16_64 0
		.amdhsa_float_denorm_mode_32 3
		.amdhsa_float_denorm_mode_16_64 3
		.amdhsa_dx10_clamp 1
		.amdhsa_ieee_mode 1
		.amdhsa_fp16_overflow 0
		.amdhsa_tg_split 0
		.amdhsa_exception_fp_ieee_invalid_op 0
		.amdhsa_exception_fp_denorm_src 0
		.amdhsa_exception_fp_ieee_div_zero 0
		.amdhsa_exception_fp_ieee_overflow 0
		.amdhsa_exception_fp_ieee_underflow 0
		.amdhsa_exception_fp_ieee_inexact 0
		.amdhsa_exception_int_div_zero 0
	.end_amdhsa_kernel
	.text
.Lfunc_end0:
	.size	bluestein_single_back_len168_dim1_dp_op_CI_CI, .Lfunc_end0-bluestein_single_back_len168_dim1_dp_op_CI_CI
                                        ; -- End function
	.section	.AMDGPU.csdata,"",@progbits
; Kernel info:
; codeLenInByte = 6104
; NumSgprs: 28
; NumVgprs: 94
; NumAgprs: 0
; TotalNumVgprs: 94
; ScratchSize: 0
; MemoryBound: 0
; FloatMode: 240
; IeeeMode: 1
; LDSByteSize: 10752 bytes/workgroup (compile time only)
; SGPRBlocks: 3
; VGPRBlocks: 11
; NumSGPRsForWavesPerEU: 28
; NumVGPRsForWavesPerEU: 94
; AccumOffset: 96
; Occupancy: 5
; WaveLimiterHint : 1
; COMPUTE_PGM_RSRC2:SCRATCH_EN: 0
; COMPUTE_PGM_RSRC2:USER_SGPR: 2
; COMPUTE_PGM_RSRC2:TRAP_HANDLER: 0
; COMPUTE_PGM_RSRC2:TGID_X_EN: 1
; COMPUTE_PGM_RSRC2:TGID_Y_EN: 0
; COMPUTE_PGM_RSRC2:TGID_Z_EN: 0
; COMPUTE_PGM_RSRC2:TIDIG_COMP_CNT: 0
; COMPUTE_PGM_RSRC3_GFX90A:ACCUM_OFFSET: 23
; COMPUTE_PGM_RSRC3_GFX90A:TG_SPLIT: 0
	.text
	.p2alignl 6, 3212836864
	.fill 256, 4, 3212836864
	.type	__hip_cuid_6cb301b657767d77,@object ; @__hip_cuid_6cb301b657767d77
	.section	.bss,"aw",@nobits
	.globl	__hip_cuid_6cb301b657767d77
__hip_cuid_6cb301b657767d77:
	.byte	0                               ; 0x0
	.size	__hip_cuid_6cb301b657767d77, 1

	.ident	"AMD clang version 19.0.0git (https://github.com/RadeonOpenCompute/llvm-project roc-6.4.0 25133 c7fe45cf4b819c5991fe208aaa96edf142730f1d)"
	.section	".note.GNU-stack","",@progbits
	.addrsig
	.addrsig_sym __hip_cuid_6cb301b657767d77
	.amdgpu_metadata
---
amdhsa.kernels:
  - .agpr_count:     0
    .args:
      - .actual_access:  read_only
        .address_space:  global
        .offset:         0
        .size:           8
        .value_kind:     global_buffer
      - .actual_access:  read_only
        .address_space:  global
        .offset:         8
        .size:           8
        .value_kind:     global_buffer
      - .actual_access:  read_only
        .address_space:  global
        .offset:         16
        .size:           8
        .value_kind:     global_buffer
      - .actual_access:  read_only
        .address_space:  global
        .offset:         24
        .size:           8
        .value_kind:     global_buffer
      - .actual_access:  read_only
        .address_space:  global
        .offset:         32
        .size:           8
        .value_kind:     global_buffer
      - .offset:         40
        .size:           8
        .value_kind:     by_value
      - .address_space:  global
        .offset:         48
        .size:           8
        .value_kind:     global_buffer
      - .address_space:  global
        .offset:         56
        .size:           8
        .value_kind:     global_buffer
      - .address_space:  global
        .offset:         64
        .size:           8
        .value_kind:     global_buffer
      - .address_space:  global
        .offset:         72
        .size:           8
        .value_kind:     global_buffer
      - .offset:         80
        .size:           4
        .value_kind:     by_value
      - .address_space:  global
        .offset:         88
        .size:           8
        .value_kind:     global_buffer
      - .address_space:  global
        .offset:         96
        .size:           8
        .value_kind:     global_buffer
    .group_segment_fixed_size: 10752
    .kernarg_segment_align: 8
    .kernarg_segment_size: 104
    .language:       OpenCL C
    .language_version:
      - 2
      - 0
    .max_flat_workgroup_size: 224
    .name:           bluestein_single_back_len168_dim1_dp_op_CI_CI
    .private_segment_fixed_size: 0
    .sgpr_count:     28
    .sgpr_spill_count: 0
    .symbol:         bluestein_single_back_len168_dim1_dp_op_CI_CI.kd
    .uniform_work_group_size: 1
    .uses_dynamic_stack: false
    .vgpr_count:     94
    .vgpr_spill_count: 0
    .wavefront_size: 64
amdhsa.target:   amdgcn-amd-amdhsa--gfx950
amdhsa.version:
  - 1
  - 2
...

	.end_amdgpu_metadata
